;; amdgpu-corpus repo=ROCm/rocFFT kind=compiled arch=gfx1030 opt=O3
	.text
	.amdgcn_target "amdgcn-amd-amdhsa--gfx1030"
	.amdhsa_code_object_version 6
	.protected	fft_rtc_back_len165_factors_11_5_3_wgs_55_tpt_11_dp_ip_CI_sbrr_dirReg ; -- Begin function fft_rtc_back_len165_factors_11_5_3_wgs_55_tpt_11_dp_ip_CI_sbrr_dirReg
	.globl	fft_rtc_back_len165_factors_11_5_3_wgs_55_tpt_11_dp_ip_CI_sbrr_dirReg
	.p2align	8
	.type	fft_rtc_back_len165_factors_11_5_3_wgs_55_tpt_11_dp_ip_CI_sbrr_dirReg,@function
fft_rtc_back_len165_factors_11_5_3_wgs_55_tpt_11_dp_ip_CI_sbrr_dirReg: ; @fft_rtc_back_len165_factors_11_5_3_wgs_55_tpt_11_dp_ip_CI_sbrr_dirReg
; %bb.0:
	s_clause 0x1
	s_load_dwordx2 s[14:15], s[4:5], 0x18
	s_load_dwordx4 s[8:11], s[4:5], 0x0
	v_mul_u32_u24_e32 v1, 0x1746, v0
	v_mov_b32_e32 v5, 0
	v_mov_b32_e32 v3, 0
	v_mov_b32_e32 v4, 0
	s_load_dwordx2 s[12:13], s[4:5], 0x50
	s_waitcnt lgkmcnt(0)
	s_load_dwordx2 s[2:3], s[14:15], 0x0
	v_lshrrev_b32_e32 v1, 16, v1
	v_cmp_lt_u64_e64 s0, s[10:11], 2
	v_mad_u64_u32 v[1:2], null, s6, 5, v[1:2]
	v_mov_b32_e32 v2, v5
	s_and_b32 vcc_lo, exec_lo, s0
	v_mov_b32_e32 v10, v2
	v_mov_b32_e32 v9, v1
	s_cbranch_vccnz .LBB0_8
; %bb.1:
	s_load_dwordx2 s[0:1], s[4:5], 0x10
	v_mov_b32_e32 v3, 0
	v_mov_b32_e32 v8, v2
	s_add_u32 s6, s14, 8
	v_mov_b32_e32 v4, 0
	v_mov_b32_e32 v7, v1
	s_addc_u32 s7, s15, 0
	s_mov_b64 s[18:19], 1
	s_waitcnt lgkmcnt(0)
	s_add_u32 s16, s0, 8
	s_addc_u32 s17, s1, 0
.LBB0_2:                                ; =>This Inner Loop Header: Depth=1
	s_load_dwordx2 s[20:21], s[16:17], 0x0
                                        ; implicit-def: $vgpr9_vgpr10
	s_mov_b32 s0, exec_lo
	s_waitcnt lgkmcnt(0)
	v_or_b32_e32 v6, s21, v8
	v_cmpx_ne_u64_e32 0, v[5:6]
	s_xor_b32 s1, exec_lo, s0
	s_cbranch_execz .LBB0_4
; %bb.3:                                ;   in Loop: Header=BB0_2 Depth=1
	v_cvt_f32_u32_e32 v2, s20
	v_cvt_f32_u32_e32 v6, s21
	s_sub_u32 s0, 0, s20
	s_subb_u32 s22, 0, s21
	v_fmac_f32_e32 v2, 0x4f800000, v6
	v_rcp_f32_e32 v2, v2
	v_mul_f32_e32 v2, 0x5f7ffffc, v2
	v_mul_f32_e32 v6, 0x2f800000, v2
	v_trunc_f32_e32 v6, v6
	v_fmac_f32_e32 v2, 0xcf800000, v6
	v_cvt_u32_f32_e32 v6, v6
	v_cvt_u32_f32_e32 v2, v2
	v_mul_lo_u32 v9, s0, v6
	v_mul_hi_u32 v10, s0, v2
	v_mul_lo_u32 v11, s22, v2
	v_add_nc_u32_e32 v9, v10, v9
	v_mul_lo_u32 v10, s0, v2
	v_add_nc_u32_e32 v9, v9, v11
	v_mul_hi_u32 v11, v2, v10
	v_mul_lo_u32 v12, v2, v9
	v_mul_hi_u32 v13, v2, v9
	v_mul_hi_u32 v14, v6, v10
	v_mul_lo_u32 v10, v6, v10
	v_mul_hi_u32 v15, v6, v9
	v_mul_lo_u32 v9, v6, v9
	v_add_co_u32 v11, vcc_lo, v11, v12
	v_add_co_ci_u32_e32 v12, vcc_lo, 0, v13, vcc_lo
	v_add_co_u32 v10, vcc_lo, v11, v10
	v_add_co_ci_u32_e32 v10, vcc_lo, v12, v14, vcc_lo
	v_add_co_ci_u32_e32 v11, vcc_lo, 0, v15, vcc_lo
	v_add_co_u32 v9, vcc_lo, v10, v9
	v_add_co_ci_u32_e32 v10, vcc_lo, 0, v11, vcc_lo
	v_add_co_u32 v2, vcc_lo, v2, v9
	v_add_co_ci_u32_e32 v6, vcc_lo, v6, v10, vcc_lo
	v_mul_hi_u32 v9, s0, v2
	v_mul_lo_u32 v11, s22, v2
	v_mul_lo_u32 v10, s0, v6
	v_add_nc_u32_e32 v9, v9, v10
	v_mul_lo_u32 v10, s0, v2
	v_add_nc_u32_e32 v9, v9, v11
	v_mul_hi_u32 v11, v2, v10
	v_mul_lo_u32 v12, v2, v9
	v_mul_hi_u32 v13, v2, v9
	v_mul_hi_u32 v14, v6, v10
	v_mul_lo_u32 v10, v6, v10
	v_mul_hi_u32 v15, v6, v9
	v_mul_lo_u32 v9, v6, v9
	v_add_co_u32 v11, vcc_lo, v11, v12
	v_add_co_ci_u32_e32 v12, vcc_lo, 0, v13, vcc_lo
	v_add_co_u32 v10, vcc_lo, v11, v10
	v_add_co_ci_u32_e32 v10, vcc_lo, v12, v14, vcc_lo
	v_add_co_ci_u32_e32 v11, vcc_lo, 0, v15, vcc_lo
	v_add_co_u32 v9, vcc_lo, v10, v9
	v_add_co_ci_u32_e32 v10, vcc_lo, 0, v11, vcc_lo
	v_add_co_u32 v2, vcc_lo, v2, v9
	v_add_co_ci_u32_e32 v6, vcc_lo, v6, v10, vcc_lo
	v_mul_hi_u32 v15, v7, v2
	v_mad_u64_u32 v[11:12], null, v8, v2, 0
	v_mad_u64_u32 v[9:10], null, v7, v6, 0
	v_mad_u64_u32 v[13:14], null, v8, v6, 0
	v_add_co_u32 v2, vcc_lo, v15, v9
	v_add_co_ci_u32_e32 v6, vcc_lo, 0, v10, vcc_lo
	v_add_co_u32 v2, vcc_lo, v2, v11
	v_add_co_ci_u32_e32 v2, vcc_lo, v6, v12, vcc_lo
	v_add_co_ci_u32_e32 v6, vcc_lo, 0, v14, vcc_lo
	v_add_co_u32 v2, vcc_lo, v2, v13
	v_add_co_ci_u32_e32 v6, vcc_lo, 0, v6, vcc_lo
	v_mul_lo_u32 v11, s21, v2
	v_mad_u64_u32 v[9:10], null, s20, v2, 0
	v_mul_lo_u32 v12, s20, v6
	v_sub_co_u32 v9, vcc_lo, v7, v9
	v_add3_u32 v10, v10, v12, v11
	v_sub_nc_u32_e32 v11, v8, v10
	v_subrev_co_ci_u32_e64 v11, s0, s21, v11, vcc_lo
	v_add_co_u32 v12, s0, v2, 2
	v_add_co_ci_u32_e64 v13, s0, 0, v6, s0
	v_sub_co_u32 v14, s0, v9, s20
	v_sub_co_ci_u32_e32 v10, vcc_lo, v8, v10, vcc_lo
	v_subrev_co_ci_u32_e64 v11, s0, 0, v11, s0
	v_cmp_le_u32_e32 vcc_lo, s20, v14
	v_cmp_eq_u32_e64 s0, s21, v10
	v_cndmask_b32_e64 v14, 0, -1, vcc_lo
	v_cmp_le_u32_e32 vcc_lo, s21, v11
	v_cndmask_b32_e64 v15, 0, -1, vcc_lo
	v_cmp_le_u32_e32 vcc_lo, s20, v9
	;; [unrolled: 2-line block ×3, first 2 shown]
	v_cndmask_b32_e64 v16, 0, -1, vcc_lo
	v_cmp_eq_u32_e32 vcc_lo, s21, v11
	v_cndmask_b32_e64 v9, v16, v9, s0
	v_cndmask_b32_e32 v11, v15, v14, vcc_lo
	v_add_co_u32 v14, vcc_lo, v2, 1
	v_add_co_ci_u32_e32 v15, vcc_lo, 0, v6, vcc_lo
	v_cmp_ne_u32_e32 vcc_lo, 0, v11
	v_cndmask_b32_e32 v10, v15, v13, vcc_lo
	v_cndmask_b32_e32 v11, v14, v12, vcc_lo
	v_cmp_ne_u32_e32 vcc_lo, 0, v9
	v_cndmask_b32_e32 v10, v6, v10, vcc_lo
	v_cndmask_b32_e32 v9, v2, v11, vcc_lo
.LBB0_4:                                ;   in Loop: Header=BB0_2 Depth=1
	s_andn2_saveexec_b32 s0, s1
	s_cbranch_execz .LBB0_6
; %bb.5:                                ;   in Loop: Header=BB0_2 Depth=1
	v_cvt_f32_u32_e32 v2, s20
	s_sub_i32 s1, 0, s20
	v_rcp_iflag_f32_e32 v2, v2
	v_mul_f32_e32 v2, 0x4f7ffffe, v2
	v_cvt_u32_f32_e32 v2, v2
	v_mul_lo_u32 v6, s1, v2
	v_mul_hi_u32 v6, v2, v6
	v_add_nc_u32_e32 v2, v2, v6
	v_mul_hi_u32 v2, v7, v2
	v_mul_lo_u32 v6, v2, s20
	v_add_nc_u32_e32 v9, 1, v2
	v_sub_nc_u32_e32 v6, v7, v6
	v_subrev_nc_u32_e32 v10, s20, v6
	v_cmp_le_u32_e32 vcc_lo, s20, v6
	v_cndmask_b32_e32 v6, v6, v10, vcc_lo
	v_cndmask_b32_e32 v2, v2, v9, vcc_lo
	v_mov_b32_e32 v10, v5
	v_cmp_le_u32_e32 vcc_lo, s20, v6
	v_add_nc_u32_e32 v9, 1, v2
	v_cndmask_b32_e32 v9, v2, v9, vcc_lo
.LBB0_6:                                ;   in Loop: Header=BB0_2 Depth=1
	s_or_b32 exec_lo, exec_lo, s0
	s_load_dwordx2 s[0:1], s[6:7], 0x0
	v_mul_lo_u32 v2, v10, s20
	v_mul_lo_u32 v6, v9, s21
	v_mad_u64_u32 v[11:12], null, v9, s20, 0
	s_add_u32 s18, s18, 1
	s_addc_u32 s19, s19, 0
	s_add_u32 s6, s6, 8
	s_addc_u32 s7, s7, 0
	s_add_u32 s16, s16, 8
	s_addc_u32 s17, s17, 0
	v_add3_u32 v2, v12, v6, v2
	v_sub_co_u32 v6, vcc_lo, v7, v11
	v_sub_co_ci_u32_e32 v2, vcc_lo, v8, v2, vcc_lo
	s_waitcnt lgkmcnt(0)
	v_mul_lo_u32 v7, s1, v6
	v_mul_lo_u32 v2, s0, v2
	v_mad_u64_u32 v[3:4], null, s0, v6, v[3:4]
	v_cmp_ge_u64_e64 s0, s[18:19], s[10:11]
	s_and_b32 vcc_lo, exec_lo, s0
	v_add3_u32 v4, v7, v4, v2
	s_cbranch_vccnz .LBB0_8
; %bb.7:                                ;   in Loop: Header=BB0_2 Depth=1
	v_mov_b32_e32 v7, v9
	v_mov_b32_e32 v8, v10
	s_branch .LBB0_2
.LBB0_8:
	s_lshl_b64 s[0:1], s[10:11], 3
	v_mul_hi_u32 v2, 0xcccccccd, v1
	s_add_u32 s0, s14, s0
	s_addc_u32 s1, s15, s1
	v_mul_hi_u32 v5, 0x1745d175, v0
	s_load_dwordx2 s[0:1], s[0:1], 0x0
	s_load_dwordx2 s[4:5], s[4:5], 0x20
                                        ; implicit-def: $vgpr110
	v_lshrrev_b32_e32 v6, 2, v2
	v_mul_u32_u24_e32 v5, 11, v5
	v_sub_nc_u32_e32 v104, v0, v5
	v_add_nc_u32_e32 v105, 11, v104
	s_waitcnt lgkmcnt(0)
	v_mul_lo_u32 v7, s0, v10
	v_mul_lo_u32 v8, s1, v9
	v_mad_u64_u32 v[2:3], null, s0, v9, v[3:4]
	v_lshl_add_u32 v4, v6, 2, v6
	v_cmp_gt_u64_e32 vcc_lo, s[4:5], v[9:10]
	v_cmp_le_u64_e64 s0, s[4:5], v[9:10]
	v_sub_nc_u32_e32 v0, v1, v4
	v_add3_u32 v3, v8, v3, v7
	s_and_saveexec_b32 s1, s0
	s_xor_b32 s0, exec_lo, s1
; %bb.9:
	v_add_nc_u32_e32 v110, 11, v104
; %bb.10:
	s_or_saveexec_b32 s1, s0
	v_mul_u32_u24_e32 v1, 0xa5, v0
	v_lshlrev_b64 v[88:89], 4, v[2:3]
	v_lshlrev_b32_e32 v0, 4, v104
	v_add_nc_u32_e32 v106, 22, v104
	v_add_nc_u32_e32 v103, 33, v104
	v_lshlrev_b32_e32 v109, 4, v1
	v_add_nc_u32_e32 v101, 44, v104
	v_add_nc_u32_e32 v102, 55, v104
	;; [unrolled: 1-line block ×11, first 2 shown]
	s_xor_b32 exec_lo, exec_lo, s1
	s_cbranch_execz .LBB0_12
; %bb.11:
	v_mad_u64_u32 v[1:2], null, s2, v104, 0
	v_mad_u64_u32 v[3:4], null, s2, v105, 0
	;; [unrolled: 1-line block ×3, first 2 shown]
	v_add_co_u32 v28, s0, s12, v88
	v_add_co_ci_u32_e64 v39, s0, s13, v89, s0
	v_mad_u64_u32 v[7:8], null, s3, v104, v[2:3]
	v_mov_b32_e32 v2, v6
	v_mad_u64_u32 v[10:11], null, s3, v105, v[4:5]
	v_mad_u64_u32 v[8:9], null, s2, v103, 0
	;; [unrolled: 1-line block ×3, first 2 shown]
	v_mov_b32_e32 v2, v7
	v_mad_u64_u32 v[12:13], null, s2, v101, 0
	v_mov_b32_e32 v4, v10
	v_mov_b32_e32 v7, v9
	v_lshlrev_b64 v[1:2], 4, v[1:2]
	v_mov_b32_e32 v6, v11
	v_mad_u64_u32 v[16:17], null, s2, v100, 0
	v_lshlrev_b64 v[3:4], 4, v[3:4]
	v_mad_u64_u32 v[9:10], null, s3, v103, v[7:8]
	v_add_co_u32 v1, s0, v28, v1
	v_add_co_ci_u32_e64 v2, s0, v39, v2, s0
	v_mov_b32_e32 v7, v13
	v_mad_u64_u32 v[10:11], null, s2, v102, 0
	v_add_co_u32 v14, s0, v28, v3
	v_add_co_ci_u32_e64 v15, s0, v39, v4, s0
	v_lshlrev_b64 v[3:4], 4, v[5:6]
	v_mad_u64_u32 v[5:6], null, s3, v101, v[7:8]
	v_mov_b32_e32 v6, v11
	v_mad_u64_u32 v[31:32], null, s2, v93, 0
	v_add_co_u32 v18, s0, v28, v3
	v_add_co_ci_u32_e64 v19, s0, v39, v4, s0
	v_lshlrev_b64 v[3:4], 4, v[8:9]
	v_mov_b32_e32 v13, v5
	v_mad_u64_u32 v[5:6], null, s3, v102, v[6:7]
	v_mad_u64_u32 v[7:8], null, s2, v99, 0
	v_mov_b32_e32 v6, v17
	v_add_co_u32 v20, s0, v28, v3
	v_add_co_ci_u32_e64 v21, s0, v39, v4, s0
	v_lshlrev_b64 v[3:4], 4, v[12:13]
	v_mov_b32_e32 v11, v5
	v_mad_u64_u32 v[5:6], null, s3, v100, v[6:7]
	v_mov_b32_e32 v6, v8
	v_mad_u64_u32 v[12:13], null, s2, v98, 0
	v_add_co_u32 v22, s0, v28, v3
	v_add_co_ci_u32_e64 v23, s0, v39, v4, s0
	v_lshlrev_b64 v[3:4], 4, v[10:11]
	v_mov_b32_e32 v17, v5
	v_mad_u64_u32 v[5:6], null, s3, v99, v[6:7]
	v_mad_u64_u32 v[9:10], null, s2, v97, 0
	v_mov_b32_e32 v6, v13
	v_add_co_u32 v24, s0, v28, v3
	v_add_co_ci_u32_e64 v25, s0, v39, v4, s0
	v_lshlrev_b64 v[3:4], 4, v[16:17]
	v_mov_b32_e32 v8, v5
	v_mad_u64_u32 v[5:6], null, s3, v98, v[6:7]
	v_mov_b32_e32 v6, v10
	v_mad_u64_u32 v[16:17], null, s2, v96, 0
	v_add_co_u32 v26, s0, v28, v3
	v_add_co_ci_u32_e64 v27, s0, v39, v4, s0
	v_lshlrev_b64 v[3:4], 4, v[7:8]
	v_mad_u64_u32 v[6:7], null, s3, v97, v[6:7]
	v_mov_b32_e32 v13, v5
	v_mov_b32_e32 v5, v17
	v_mad_u64_u32 v[35:36], null, s2, v92, 0
	v_add_co_u32 v29, s0, v28, v3
	v_mov_b32_e32 v10, v6
	v_mad_u64_u32 v[5:6], null, s3, v96, v[5:6]
	v_add_co_ci_u32_e64 v30, s0, v39, v4, s0
	v_lshlrev_b64 v[3:4], 4, v[12:13]
	v_mad_u64_u32 v[11:12], null, s2, v95, 0
	v_mov_b32_e32 v13, v36
	v_mov_b32_e32 v17, v5
	v_add3_u32 v61, 0, v109, v0
	v_add_co_u32 v33, s0, v28, v3
	v_add_co_ci_u32_e64 v34, s0, v39, v4, s0
	v_lshlrev_b64 v[3:4], 4, v[9:10]
	v_lshlrev_b64 v[6:7], 4, v[16:17]
	v_mad_u64_u32 v[9:10], null, s2, v94, 0
	v_mov_b32_e32 v5, v12
	v_mov_b32_e32 v110, v105
	v_add_co_u32 v37, s0, v28, v3
	v_add_co_ci_u32_e64 v38, s0, v39, v4, s0
	v_mad_u64_u32 v[4:5], null, s3, v95, v[5:6]
	v_mov_b32_e32 v3, v10
	v_add_co_u32 v41, s0, v28, v6
	v_add_co_ci_u32_e64 v42, s0, v39, v7, s0
	v_mad_u64_u32 v[16:17], null, s3, v94, v[3:4]
	v_mov_b32_e32 v3, v32
	v_mov_b32_e32 v12, v4
	v_mov_b32_e32 v10, v16
	v_mad_u64_u32 v[16:17], null, s3, v93, v[3:4]
	s_clause 0x1
	global_load_dwordx4 v[1:4], v[1:2], off
	global_load_dwordx4 v[5:8], v[14:15], off
	v_mad_u64_u32 v[13:14], null, s3, v92, v[13:14]
	v_lshlrev_b64 v[11:12], 4, v[11:12]
	v_lshlrev_b64 v[9:10], 4, v[9:10]
	v_mov_b32_e32 v32, v16
	v_add_co_u32 v45, s0, v28, v11
	v_mov_b32_e32 v36, v13
	v_add_co_ci_u32_e64 v46, s0, v39, v12, s0
	v_lshlrev_b64 v[11:12], 4, v[31:32]
	v_add_co_u32 v49, s0, v28, v9
	v_lshlrev_b64 v[31:32], 4, v[35:36]
	v_add_co_ci_u32_e64 v50, s0, v39, v10, s0
	v_add_co_u32 v53, s0, v28, v11
	v_add_co_ci_u32_e64 v54, s0, v39, v12, s0
	v_add_co_u32 v57, s0, v28, v31
	v_add_co_ci_u32_e64 v58, s0, v39, v32, s0
	s_clause 0xc
	global_load_dwordx4 v[9:12], v[18:19], off
	global_load_dwordx4 v[13:16], v[20:21], off
	;; [unrolled: 1-line block ×13, first 2 shown]
	s_waitcnt vmcnt(14)
	ds_write_b128 v61, v[1:4]
	s_waitcnt vmcnt(13)
	ds_write_b128 v61, v[5:8] offset:176
	s_waitcnt vmcnt(12)
	ds_write_b128 v61, v[9:12] offset:352
	;; [unrolled: 2-line block ×14, first 2 shown]
.LBB0_12:
	s_or_b32 exec_lo, exec_lo, s1
	v_add_nc_u32_e32 v1, 0, v0
	v_add_nc_u32_e32 v72, 0, v109
	s_waitcnt lgkmcnt(0)
	s_barrier
	buffer_gl0_inv
	v_add_nc_u32_e32 v108, v1, v109
	v_add_nc_u32_e32 v107, v72, v0
	s_mov_b32 s28, 0x8eee2c13
	s_mov_b32 s4, 0x8764f0ba
	;; [unrolled: 1-line block ×3, first 2 shown]
	ds_read_b128 v[20:23], v108 offset:240
	ds_read_b128 v[12:15], v107
	ds_read_b128 v[0:3], v108 offset:176
	ds_read_b128 v[8:11], v108 offset:416
	;; [unrolled: 1-line block ×11, first 2 shown]
	s_mov_b32 s29, 0xbfed1bb4
	s_mov_b32 s5, 0x3feaeb8c
	;; [unrolled: 1-line block ×11, first 2 shown]
	s_waitcnt lgkmcnt(11)
	v_add_f64 v[16:17], v[12:13], v[20:21]
	v_add_f64 v[18:19], v[14:15], v[22:23]
	s_mov_b32 s21, 0xbfe82f19
	s_mov_b32 s17, 0xbfd207e7
	s_waitcnt lgkmcnt(4)
	v_add_f64 v[115:116], v[22:23], -v[54:55]
	v_add_f64 v[22:23], v[22:23], v[54:55]
	s_waitcnt lgkmcnt(3)
	v_add_f64 v[117:118], v[68:69], v[56:57]
	v_add_f64 v[119:120], v[70:71], v[58:59]
	v_add_f64 v[121:122], v[68:69], -v[56:57]
	v_add_f64 v[123:124], v[70:71], -v[58:59]
	v_add_f64 v[137:138], v[20:21], v[52:53]
	v_add_f64 v[20:21], v[20:21], -v[52:53]
	s_mov_b32 s15, 0xbfc2375f
	s_mov_b32 s11, 0xbfe4f49e
	;; [unrolled: 1-line block ×10, first 2 shown]
	v_add_f64 v[16:17], v[16:17], v[60:61]
	v_add_f64 v[18:19], v[18:19], v[62:63]
	s_mov_b32 s37, 0x3fd207e7
	s_mov_b32 s24, s26
	v_mul_f64 v[141:142], v[115:116], s[28:29]
	v_mul_f64 v[143:144], v[22:23], s[4:5]
	v_mul_f64 v[145:146], v[22:23], s[22:23]
	v_mul_f64 v[139:140], v[115:116], s[30:31]
	v_mul_f64 v[147:148], v[22:23], s[14:15]
	s_mov_b32 s0, s20
	s_mov_b32 s36, s16
	s_waitcnt lgkmcnt(0)
	v_add_f64 v[125:126], v[73:74], v[77:78]
	v_add_f64 v[127:128], v[75:76], v[79:80]
	v_mul_f64 v[149:150], v[22:23], s[10:11]
	v_mul_f64 v[22:23], v[22:23], s[6:7]
	v_mad_u32_u24 v72, 0xb0, v104, v72
	v_add_f64 v[85:86], v[16:17], v[64:65]
	v_add_f64 v[90:91], v[18:19], v[66:67]
	ds_read_b128 v[81:84], v108 offset:2160
	ds_read_b128 v[111:114], v108 offset:1920
	ds_read_b128 v[24:27], v108 offset:1136
	ds_read_b128 v[16:19], v108 offset:1376
	ds_read_b128 v[36:39], v108 offset:1616
	ds_read_b128 v[32:35], v108 offset:1856
	ds_read_b128 v[48:51], v108 offset:2096
	ds_read_b128 v[40:43], v108 offset:2576
	ds_read_b128 v[44:47], v108 offset:2336
	v_fma_f64 v[179:180], v[137:138], s[22:23], v[141:142]
	v_fma_f64 v[175:176], v[20:21], s[18:19], v[143:144]
	;; [unrolled: 1-line block ×3, first 2 shown]
	v_fma_f64 v[141:142], v[137:138], s[22:23], -v[141:142]
	v_fma_f64 v[169:170], v[137:138], s[4:5], v[139:140]
	v_fma_f64 v[139:140], v[137:138], s[4:5], -v[139:140]
	v_fma_f64 v[145:146], v[20:21], s[28:29], v[145:146]
	v_fma_f64 v[197:198], v[20:21], s[24:25], v[147:148]
	;; [unrolled: 1-line block ×3, first 2 shown]
	v_mul_f64 v[161:162], v[127:128], s[10:11]
	v_mul_f64 v[189:190], v[127:128], s[4:5]
	s_waitcnt lgkmcnt(8)
	v_add_f64 v[129:130], v[62:63], -v[83:84]
	v_add_f64 v[62:63], v[62:63], v[83:84]
	s_waitcnt lgkmcnt(7)
	v_add_f64 v[131:132], v[66:67], -v[113:114]
	v_add_f64 v[135:136], v[60:61], v[81:82]
	v_add_f64 v[60:61], v[60:61], -v[81:82]
	v_add_f64 v[66:67], v[66:67], v[113:114]
	v_add_f64 v[133:134], v[64:65], v[111:112]
	;; [unrolled: 1-line block ×4, first 2 shown]
	v_add_f64 v[73:74], v[73:74], -v[77:78]
	v_add_f64 v[75:76], v[75:76], -v[79:80]
	;; [unrolled: 1-line block ×3, first 2 shown]
	v_add_f64 v[175:176], v[14:15], v[175:176]
	v_add_f64 v[183:184], v[14:15], v[183:184]
	;; [unrolled: 1-line block ×9, first 2 shown]
	s_waitcnt lgkmcnt(0)
	v_mul_f64 v[163:164], v[129:130], s[20:21]
	v_mul_f64 v[153:154], v[62:63], s[22:23]
	;; [unrolled: 1-line block ×7, first 2 shown]
	v_add_f64 v[68:69], v[85:86], v[68:69]
	v_add_f64 v[70:71], v[90:91], v[70:71]
	v_mul_f64 v[85:86], v[115:116], s[26:27]
	v_mul_f64 v[90:91], v[115:116], s[20:21]
	;; [unrolled: 1-line block ×10, first 2 shown]
	s_barrier
	buffer_gl0_inv
	v_fma_f64 v[199:200], v[135:136], s[10:11], v[163:164]
	v_fma_f64 v[201:202], v[60:61], s[0:1], v[165:166]
	;; [unrolled: 1-line block ×5, first 2 shown]
	v_add_f64 v[56:57], v[68:69], v[56:57]
	v_add_f64 v[58:59], v[70:71], v[58:59]
	v_mul_f64 v[70:71], v[129:130], s[36:37]
	v_fma_f64 v[191:192], v[137:138], s[14:15], v[85:86]
	v_fma_f64 v[85:86], v[137:138], s[14:15], -v[85:86]
	v_fma_f64 v[193:194], v[137:138], s[10:11], v[90:91]
	v_fma_f64 v[90:91], v[137:138], s[10:11], -v[90:91]
	v_mul_f64 v[68:69], v[127:128], s[14:15]
	v_add_f64 v[179:180], v[199:200], v[179:180]
	v_fma_f64 v[199:200], v[64:65], s[16:17], v[171:172]
	v_add_f64 v[183:184], v[201:202], v[183:184]
	v_fma_f64 v[201:202], v[20:21], s[36:37], v[22:23]
	;; [unrolled: 2-line block ×3, first 2 shown]
	v_add_f64 v[197:198], v[203:204], v[197:198]
	v_add_f64 v[56:57], v[56:57], v[77:78]
	;; [unrolled: 1-line block ×3, first 2 shown]
	v_fma_f64 v[77:78], v[137:138], s[6:7], v[115:116]
	v_fma_f64 v[79:80], v[60:61], s[34:35], v[153:154]
	v_fma_f64 v[115:116], v[137:138], s[6:7], -v[115:116]
	v_fma_f64 v[137:138], v[20:21], s[26:27], v[147:148]
	v_fma_f64 v[147:148], v[135:136], s[10:11], -v[163:164]
	v_fma_f64 v[163:164], v[60:61], s[20:21], v[165:166]
	v_fma_f64 v[165:166], v[135:136], s[6:7], v[70:71]
	v_add_f64 v[191:192], v[12:13], v[191:192]
	v_fma_f64 v[203:204], v[133:134], s[22:23], v[181:182]
	v_add_f64 v[85:86], v[12:13], v[85:86]
	v_add_f64 v[193:194], v[12:13], v[193:194]
	;; [unrolled: 1-line block ×3, first 2 shown]
	v_fma_f64 v[70:71], v[135:136], s[6:7], -v[70:71]
	v_fma_f64 v[171:172], v[64:65], s[36:37], v[171:172]
	v_add_f64 v[183:184], v[199:200], v[183:184]
	v_add_f64 v[201:202], v[14:15], v[201:202]
	v_fma_f64 v[199:200], v[73:74], s[26:27], v[68:69]
	v_add_f64 v[169:170], v[195:196], v[169:170]
	v_fma_f64 v[195:196], v[64:65], s[28:29], v[185:186]
	v_add_f64 v[56:57], v[56:57], v[111:112]
	v_add_f64 v[58:59], v[58:59], v[113:114]
	v_fma_f64 v[111:112], v[20:21], s[0:1], v[149:150]
	v_add_f64 v[79:80], v[79:80], v[175:176]
	v_fma_f64 v[175:176], v[133:134], s[6:7], v[167:168]
	v_fma_f64 v[149:150], v[20:21], s[20:21], v[149:150]
	;; [unrolled: 1-line block ×3, first 2 shown]
	v_mul_f64 v[22:23], v[129:130], s[24:25]
	v_add_f64 v[141:142], v[147:148], v[141:142]
	v_mul_f64 v[147:148], v[62:63], s[14:15]
	v_fma_f64 v[167:168], v[133:134], s[6:7], -v[167:168]
	v_fma_f64 v[113:114], v[64:65], s[24:25], v[157:158]
	v_add_f64 v[145:146], v[163:164], v[145:146]
	v_mul_f64 v[163:164], v[131:132], s[30:31]
	v_add_f64 v[165:166], v[165:166], v[191:192]
	v_add_f64 v[137:138], v[14:15], v[137:138]
	;; [unrolled: 1-line block ×4, first 2 shown]
	v_mul_f64 v[62:63], v[62:63], s[4:5]
	v_mul_f64 v[131:132], v[131:132], s[20:21]
	v_add_f64 v[70:71], v[70:71], v[85:86]
	v_fma_f64 v[85:86], v[133:134], s[22:23], -v[181:182]
	v_add_f64 v[56:57], v[56:57], v[81:82]
	v_add_f64 v[58:59], v[58:59], v[83:84]
	;; [unrolled: 1-line block ×3, first 2 shown]
	v_mul_f64 v[81:82], v[129:130], s[18:19]
	v_fma_f64 v[83:84], v[125:126], s[14:15], -v[173:174]
	v_add_f64 v[149:150], v[14:15], v[149:150]
	v_add_f64 v[14:15], v[14:15], v[20:21]
	v_fma_f64 v[20:21], v[135:136], s[14:15], v[22:23]
	v_add_f64 v[175:176], v[175:176], v[179:180]
	v_fma_f64 v[115:116], v[60:61], s[26:27], v[147:148]
	v_add_f64 v[141:142], v[167:168], v[141:142]
	v_add_f64 v[79:80], v[113:114], v[79:80]
	v_fma_f64 v[113:114], v[73:74], s[0:1], v[161:162]
	v_fma_f64 v[179:180], v[125:126], s[14:15], v[173:174]
	v_mul_f64 v[167:168], v[66:67], s[4:5]
	v_add_f64 v[129:130], v[203:204], v[165:166]
	v_fma_f64 v[165:166], v[125:126], s[4:5], v[187:188]
	v_add_f64 v[137:138], v[177:178], v[137:138]
	v_fma_f64 v[177:178], v[64:65], s[34:35], v[185:186]
	v_fma_f64 v[22:23], v[135:136], s[14:15], -v[22:23]
	v_fma_f64 v[147:148], v[60:61], s[24:25], v[147:148]
	v_mul_f64 v[66:67], v[66:67], s[10:11]
	v_add_f64 v[145:146], v[171:172], v[145:146]
	v_fma_f64 v[68:69], v[73:74], s[24:25], v[68:69]
	v_add_f64 v[171:172], v[195:196], v[197:198]
	v_fma_f64 v[185:186], v[135:136], s[4:5], v[81:82]
	v_fma_f64 v[81:82], v[135:136], s[4:5], -v[81:82]
	v_fma_f64 v[135:136], v[135:136], s[22:23], -v[151:152]
	v_fma_f64 v[173:174], v[73:74], s[18:19], v[189:190]
	v_add_f64 v[20:21], v[20:21], v[193:194]
	v_fma_f64 v[191:192], v[125:126], s[10:11], v[159:160]
	v_add_f64 v[111:112], v[115:116], v[111:112]
	;; [unrolled: 2-line block ×3, first 2 shown]
	v_fma_f64 v[141:142], v[60:61], s[30:31], v[62:63]
	v_fma_f64 v[62:63], v[60:61], s[18:19], v[62:63]
	v_fma_f64 v[60:61], v[60:61], s[28:29], v[153:154]
	v_add_f64 v[79:80], v[113:114], v[79:80]
	v_add_f64 v[113:114], v[179:180], v[175:176]
	v_fma_f64 v[179:180], v[64:65], s[18:19], v[167:168]
	v_add_f64 v[129:130], v[165:166], v[129:130]
	v_add_f64 v[22:23], v[22:23], v[90:91]
	v_fma_f64 v[163:164], v[133:134], s[4:5], -v[163:164]
	v_fma_f64 v[165:166], v[64:65], s[30:31], v[167:168]
	v_add_f64 v[175:176], v[199:200], v[183:184]
	v_mul_f64 v[181:182], v[123:124], s[16:17]
	v_mul_f64 v[183:184], v[119:120], s[6:7]
	v_add_f64 v[77:78], v[185:186], v[77:78]
	v_add_f64 v[12:13], v[81:82], v[12:13]
	v_fma_f64 v[81:82], v[133:134], s[10:11], v[131:132]
	v_fma_f64 v[131:132], v[133:134], s[10:11], -v[131:132]
	v_add_f64 v[135:136], v[135:136], v[139:140]
	v_fma_f64 v[133:134], v[133:134], s[14:15], -v[155:156]
	v_mul_f64 v[151:152], v[123:124], s[18:19]
	v_add_f64 v[20:21], v[115:116], v[20:21]
	v_add_f64 v[115:116], v[147:148], v[149:150]
	v_mul_f64 v[147:148], v[75:76], s[16:17]
	v_add_f64 v[141:142], v[141:142], v[201:202]
	v_mul_f64 v[149:150], v[127:128], s[6:7]
	v_add_f64 v[14:15], v[62:63], v[14:15]
	v_fma_f64 v[62:63], v[64:65], s[0:1], v[66:67]
	v_mul_f64 v[75:76], v[75:76], s[34:35]
	v_fma_f64 v[66:67], v[64:65], s[20:21], v[66:67]
	v_mul_f64 v[127:128], v[127:128], s[22:23]
	v_add_f64 v[60:61], v[60:61], v[143:144]
	v_fma_f64 v[64:65], v[64:65], s[26:27], v[157:158]
	v_mul_f64 v[153:154], v[119:120], s[4:5]
	v_mul_f64 v[155:156], v[123:124], s[20:21]
	;; [unrolled: 1-line block ×3, first 2 shown]
	v_add_f64 v[70:71], v[85:86], v[70:71]
	v_add_f64 v[111:112], v[179:180], v[111:112]
	v_fma_f64 v[167:168], v[125:126], s[4:5], -v[187:188]
	v_add_f64 v[22:23], v[163:164], v[22:23]
	v_add_f64 v[77:78], v[81:82], v[77:78]
	v_mul_f64 v[81:82], v[123:124], s[34:35]
	v_add_f64 v[12:13], v[131:132], v[12:13]
	v_mul_f64 v[123:124], v[123:124], s[26:27]
	v_add_f64 v[115:116], v[165:166], v[115:116]
	v_fma_f64 v[163:164], v[125:126], s[6:7], v[147:148]
	v_fma_f64 v[147:148], v[125:126], s[6:7], -v[147:148]
	v_fma_f64 v[165:166], v[73:74], s[36:37], v[149:150]
	v_fma_f64 v[149:150], v[73:74], s[16:17], v[149:150]
	v_add_f64 v[62:63], v[62:63], v[141:142]
	v_mul_f64 v[141:142], v[119:120], s[22:23]
	v_fma_f64 v[131:132], v[125:126], s[22:23], v[75:76]
	v_add_f64 v[14:15], v[66:67], v[14:15]
	v_fma_f64 v[66:67], v[73:74], s[28:29], v[127:128]
	v_mul_f64 v[119:120], v[119:120], s[14:15]
	v_fma_f64 v[75:76], v[125:126], s[22:23], -v[75:76]
	v_fma_f64 v[127:128], v[73:74], s[34:35], v[127:128]
	v_add_f64 v[68:69], v[68:69], v[145:146]
	v_add_f64 v[145:146], v[173:174], v[171:172]
	v_add_f64 v[85:86], v[177:178], v[137:138]
	v_fma_f64 v[171:172], v[73:74], s[30:31], v[189:190]
	v_add_f64 v[133:134], v[133:134], v[135:136]
	v_add_f64 v[60:61], v[64:65], v[60:61]
	v_fma_f64 v[125:126], v[125:126], s[10:11], -v[159:160]
	v_fma_f64 v[73:74], v[73:74], s[20:21], v[161:162]
	v_add_f64 v[169:170], v[191:192], v[169:170]
	v_fma_f64 v[90:91], v[117:118], s[6:7], v[181:182]
	v_fma_f64 v[137:138], v[121:122], s[36:37], v[183:184]
	;; [unrolled: 1-line block ×7, first 2 shown]
	v_add_f64 v[70:71], v[167:168], v[70:71]
	v_fma_f64 v[155:156], v[117:118], s[10:11], -v[155:156]
	v_add_f64 v[159:160], v[163:164], v[20:21]
	v_add_f64 v[111:112], v[165:166], v[111:112]
	v_fma_f64 v[161:162], v[117:118], s[22:23], v[81:82]
	v_fma_f64 v[163:164], v[121:122], s[28:29], v[141:142]
	v_add_f64 v[115:116], v[149:150], v[115:116]
	v_add_f64 v[77:78], v[131:132], v[77:78]
	;; [unrolled: 1-line block ×3, first 2 shown]
	v_fma_f64 v[131:132], v[117:118], s[14:15], v[123:124]
	v_fma_f64 v[149:150], v[121:122], s[24:25], v[119:120]
	v_add_f64 v[165:166], v[75:76], v[12:13]
	v_add_f64 v[127:128], v[127:128], v[14:15]
	v_fma_f64 v[123:124], v[117:118], s[14:15], -v[123:124]
	v_fma_f64 v[119:120], v[121:122], s[26:27], v[119:120]
	v_fma_f64 v[151:152], v[117:118], s[4:5], -v[151:152]
	v_add_f64 v[147:148], v[147:148], v[22:23]
	v_fma_f64 v[81:82], v[117:118], s[22:23], -v[81:82]
	v_fma_f64 v[141:142], v[121:122], s[34:35], v[141:142]
	v_add_f64 v[85:86], v[171:172], v[85:86]
	v_fma_f64 v[157:158], v[121:122], s[20:21], v[157:158]
	v_add_f64 v[125:126], v[125:126], v[133:134]
	v_add_f64 v[133:134], v[73:74], v[60:61]
	v_fma_f64 v[117:118], v[117:118], s[6:7], -v[181:182]
	v_fma_f64 v[121:122], v[121:122], s[16:17], v[183:184]
	v_add_f64 v[12:13], v[56:57], v[52:53]
	v_add_f64 v[14:15], v[58:59], v[54:55]
	;; [unrolled: 1-line block ×22, first 2 shown]
	s_mov_b32 s1, exec_lo
	ds_write_b128 v72, v[12:15]
	ds_write_b128 v72, v[20:23] offset:16
	ds_write_b128 v72, v[52:55] offset:32
	ds_write_b128 v72, v[60:63] offset:48
	ds_write_b128 v72, v[68:71] offset:64
	ds_write_b128 v72, v[73:76] offset:80
	ds_write_b128 v72, v[77:80] offset:96
	ds_write_b128 v72, v[81:84] offset:112
	ds_write_b128 v72, v[64:67] offset:128
	ds_write_b128 v72, v[56:59] offset:144
	ds_write_b128 v72, v[111:114] offset:160
	v_cmpx_gt_u32_e32 4, v104
	s_cbranch_execz .LBB0_14
; %bb.13:
	v_add_f64 v[20:21], v[8:9], -v[40:41]
	v_add_f64 v[22:23], v[10:11], -v[42:43]
	;; [unrolled: 1-line block ×4, first 2 shown]
	v_add_f64 v[74:75], v[10:11], v[42:43]
	v_add_f64 v[80:81], v[8:9], v[40:41]
	v_add_f64 v[56:57], v[28:29], -v[48:49]
	v_add_f64 v[64:65], v[30:31], -v[50:51]
	v_add_f64 v[72:73], v[6:7], v[46:47]
	v_add_f64 v[86:87], v[4:5], v[44:45]
	v_add_f64 v[10:11], v[2:3], v[10:11]
	v_add_f64 v[8:9], v[0:1], v[8:9]
	v_add_f64 v[54:55], v[24:25], -v[32:33]
	v_add_f64 v[62:63], v[26:27], -v[34:35]
	v_add_f64 v[70:71], v[30:31], v[50:51]
	v_add_f64 v[78:79], v[28:29], v[48:49]
	;; [unrolled: 6-line block ×3, first 2 shown]
	v_mul_f64 v[82:83], v[20:21], s[16:17]
	v_mul_f64 v[84:85], v[22:23], s[16:17]
	;; [unrolled: 1-line block ×15, first 2 shown]
	v_add_f64 v[6:7], v[10:11], v[6:7]
	v_add_f64 v[4:5], v[8:9], v[4:5]
	v_mul_f64 v[111:112], v[54:55], s[34:35]
	v_mul_f64 v[121:122], v[62:63], s[34:35]
	;; [unrolled: 1-line block ×5, first 2 shown]
	v_fma_f64 v[143:144], v[74:75], s[6:7], v[82:83]
	v_fma_f64 v[145:146], v[80:81], s[6:7], -v[84:85]
	v_fma_f64 v[82:83], v[74:75], s[6:7], -v[82:83]
	v_fma_f64 v[84:85], v[80:81], s[6:7], v[84:85]
	v_fma_f64 v[157:158], v[74:75], s[10:11], v[117:118]
	;; [unrolled: 1-line block ×3, first 2 shown]
	v_fma_f64 v[167:168], v[80:81], s[10:11], -v[131:132]
	v_fma_f64 v[169:170], v[86:87], s[4:5], -v[125:126]
	;; [unrolled: 1-line block ×3, first 2 shown]
	v_fma_f64 v[125:126], v[86:87], s[4:5], v[125:126]
	v_fma_f64 v[117:118], v[74:75], s[10:11], -v[117:118]
	v_fma_f64 v[131:132], v[80:81], s[10:11], v[131:132]
	v_fma_f64 v[173:174], v[72:73], s[14:15], v[135:136]
	;; [unrolled: 1-line block ×3, first 2 shown]
	v_fma_f64 v[183:184], v[80:81], s[14:15], -v[165:166]
	v_mul_f64 v[161:162], v[64:65], s[34:35]
	v_fma_f64 v[177:178], v[70:71], s[10:11], v[113:114]
	v_fma_f64 v[181:182], v[78:79], s[10:11], -v[123:124]
	v_fma_f64 v[113:114], v[70:71], s[10:11], -v[113:114]
	;; [unrolled: 1-line block ×3, first 2 shown]
	v_fma_f64 v[123:124], v[78:79], s[10:11], v[123:124]
	v_fma_f64 v[135:136], v[72:73], s[14:15], -v[135:136]
	v_add_f64 v[143:144], v[2:3], v[143:144]
	v_add_f64 v[145:146], v[0:1], v[145:146]
	;; [unrolled: 1-line block ×5, first 2 shown]
	v_fma_f64 v[147:148], v[86:87], s[14:15], v[147:148]
	v_add_f64 v[6:7], v[6:7], v[30:31]
	v_add_f64 v[4:5], v[4:5], v[28:29]
	v_mul_f64 v[139:140], v[62:63], s[16:17]
	v_mul_f64 v[149:150], v[54:55], s[30:31]
	v_add_f64 v[117:118], v[2:3], v[117:118]
	v_add_f64 v[131:132], v[0:1], v[131:132]
	v_mul_f64 v[159:160], v[62:63], s[30:31]
	v_fma_f64 v[171:172], v[68:69], s[22:23], v[111:112]
	v_fma_f64 v[111:112], v[68:69], s[22:23], -v[111:112]
	v_fma_f64 v[155:156], v[74:75], s[14:15], -v[155:156]
	v_add_f64 v[167:168], v[0:1], v[167:168]
	v_mul_f64 v[127:128], v[52:53], s[34:35]
	v_mul_f64 v[137:138], v[60:61], s[34:35]
	;; [unrolled: 1-line block ×4, first 2 shown]
	v_add_f64 v[10:11], v[10:11], v[143:144]
	v_add_f64 v[143:144], v[169:170], v[145:146]
	v_add_f64 v[82:83], v[115:116], v[82:83]
	v_add_f64 v[84:85], v[125:126], v[84:85]
	v_fma_f64 v[125:126], v[70:71], s[4:5], v[133:134]
	v_fma_f64 v[145:146], v[72:73], s[6:7], v[153:154]
	v_add_f64 v[169:170], v[2:3], v[175:176]
	v_add_f64 v[157:158], v[173:174], v[157:158]
	v_fma_f64 v[173:174], v[86:87], s[6:7], -v[163:164]
	v_add_f64 v[175:176], v[0:1], v[183:184]
	v_fma_f64 v[115:116], v[76:77], s[22:23], -v[121:122]
	v_fma_f64 v[121:122], v[76:77], s[22:23], v[121:122]
	v_fma_f64 v[183:184], v[78:79], s[4:5], -v[141:142]
	v_fma_f64 v[133:134], v[70:71], s[4:5], -v[133:134]
	v_fma_f64 v[141:142], v[78:79], s[4:5], v[141:142]
	v_add_f64 v[117:118], v[135:136], v[117:118]
	v_add_f64 v[131:132], v[147:148], v[131:132]
	v_fma_f64 v[147:148], v[70:71], s[22:23], v[151:152]
	v_add_f64 v[6:7], v[6:7], v[26:27]
	v_add_f64 v[4:5], v[4:5], v[24:25]
	v_fma_f64 v[153:154], v[72:73], s[6:7], -v[153:154]
	v_add_f64 v[28:29], v[2:3], v[155:156]
	v_mul_f64 v[24:25], v[22:23], s[30:31]
	v_add_f64 v[135:136], v[181:182], v[143:144]
	v_add_f64 v[82:83], v[113:114], v[82:83]
	v_add_f64 v[84:85], v[123:124], v[84:85]
	v_fma_f64 v[123:124], v[80:81], s[14:15], v[165:166]
	v_fma_f64 v[143:144], v[68:69], s[6:7], v[129:130]
	v_add_f64 v[145:146], v[145:146], v[169:170]
	v_add_f64 v[125:126], v[125:126], v[157:158]
	v_fma_f64 v[165:166], v[78:79], s[22:23], -v[161:162]
	v_add_f64 v[169:170], v[173:174], v[175:176]
	v_fma_f64 v[157:158], v[76:77], s[6:7], -v[139:140]
	v_fma_f64 v[129:130], v[68:69], s[6:7], -v[129:130]
	v_fma_f64 v[139:140], v[76:77], s[6:7], v[139:140]
	v_add_f64 v[167:168], v[185:186], v[167:168]
	v_mul_f64 v[22:23], v[22:23], s[28:29]
	v_add_f64 v[30:31], v[133:134], v[117:118]
	v_add_f64 v[117:118], v[141:142], v[131:132]
	v_fma_f64 v[131:132], v[68:69], s[4:5], v[149:150]
	v_add_f64 v[6:7], v[6:7], v[18:19]
	v_add_f64 v[4:5], v[4:5], v[16:17]
	v_fma_f64 v[113:114], v[12:13], s[22:23], v[127:128]
	v_fma_f64 v[26:27], v[12:13], s[22:23], -v[127:128]
	v_fma_f64 v[127:128], v[70:71], s[22:23], -v[151:152]
	v_add_f64 v[115:116], v[115:116], v[135:136]
	v_add_f64 v[82:83], v[111:112], v[82:83]
	;; [unrolled: 1-line block ×3, first 2 shown]
	v_fma_f64 v[111:112], v[86:87], s[6:7], v[163:164]
	v_add_f64 v[121:122], v[0:1], v[123:124]
	v_add_f64 v[133:134], v[147:148], v[145:146]
	;; [unrolled: 1-line block ×3, first 2 shown]
	v_mul_f64 v[135:136], v[20:21], s[28:29]
	v_fma_f64 v[143:144], v[76:77], s[4:5], -v[159:160]
	v_add_f64 v[145:146], v[165:166], v[169:170]
	v_mul_f64 v[20:21], v[20:21], s[30:31]
	v_fma_f64 v[147:148], v[14:15], s[22:23], -v[137:138]
	v_add_f64 v[28:29], v[153:154], v[28:29]
	v_mul_f64 v[151:152], v[66:67], s[20:21]
	v_add_f64 v[30:31], v[129:130], v[30:31]
	v_fma_f64 v[129:130], v[14:15], s[22:23], v[137:138]
	v_fma_f64 v[137:138], v[78:79], s[22:23], v[161:162]
	v_add_f64 v[117:118], v[139:140], v[117:118]
	v_mul_f64 v[66:67], v[66:67], s[28:29]
	v_fma_f64 v[16:17], v[80:81], s[4:5], v[24:25]
	v_add_f64 v[167:168], v[183:184], v[167:168]
	v_fma_f64 v[18:19], v[80:81], s[22:23], v[22:23]
	v_fma_f64 v[22:23], v[80:81], s[22:23], -v[22:23]
	v_fma_f64 v[24:25], v[80:81], s[4:5], -v[24:25]
	v_add_f64 v[6:7], v[6:7], v[38:39]
	v_add_f64 v[4:5], v[4:5], v[36:37]
	;; [unrolled: 1-line block ×4, first 2 shown]
	v_mul_f64 v[133:134], v[58:59], s[20:21]
	v_fma_f64 v[139:140], v[74:75], s[22:23], -v[135:136]
	v_mul_f64 v[58:59], v[58:59], s[28:29]
	v_add_f64 v[143:144], v[143:144], v[145:146]
	v_fma_f64 v[145:146], v[74:75], s[4:5], -v[20:21]
	v_fma_f64 v[135:136], v[74:75], s[22:23], v[135:136]
	v_fma_f64 v[20:21], v[74:75], s[4:5], v[20:21]
	v_add_f64 v[28:29], v[127:128], v[28:29]
	v_fma_f64 v[127:128], v[76:77], s[4:5], v[159:160]
	v_mul_f64 v[80:81], v[56:57], s[36:37]
	v_mul_f64 v[56:57], v[56:57], s[26:27]
	;; [unrolled: 1-line block ×3, first 2 shown]
	v_fma_f64 v[161:162], v[86:87], s[22:23], v[66:67]
	v_add_f64 v[16:17], v[0:1], v[16:17]
	v_add_f64 v[155:156], v[157:158], v[167:168]
	v_fma_f64 v[157:158], v[86:87], s[10:11], v[151:152]
	v_add_f64 v[18:19], v[0:1], v[18:19]
	v_add_f64 v[22:23], v[0:1], v[22:23]
	;; [unrolled: 1-line block ×5, first 2 shown]
	v_mul_f64 v[111:112], v[64:65], s[36:37]
	v_fma_f64 v[137:138], v[72:73], s[10:11], -v[133:134]
	v_add_f64 v[139:140], v[2:3], v[139:140]
	v_mul_f64 v[64:65], v[64:65], s[26:27]
	v_fma_f64 v[159:160], v[72:73], s[22:23], -v[58:59]
	v_add_f64 v[145:146], v[2:3], v[145:146]
	v_fma_f64 v[36:37], v[72:73], s[10:11], v[133:134]
	v_add_f64 v[38:39], v[2:3], v[135:136]
	v_fma_f64 v[133:134], v[86:87], s[10:11], -v[151:152]
	v_fma_f64 v[58:59], v[72:73], s[22:23], v[58:59]
	v_add_f64 v[2:3], v[2:3], v[20:21]
	v_fma_f64 v[20:21], v[86:87], s[22:23], -v[66:67]
	v_add_f64 v[4:5], v[4:5], v[32:33]
	v_mul_f64 v[24:25], v[54:55], s[24:25]
	v_mul_f64 v[66:67], v[62:63], s[24:25]
	v_fma_f64 v[72:73], v[70:71], s[6:7], -v[80:81]
	v_mul_f64 v[54:55], v[54:55], s[20:21]
	v_mul_f64 v[62:63], v[62:63], s[20:21]
	v_add_f64 v[16:17], v[161:162], v[16:17]
	v_add_f64 v[18:19], v[157:158], v[18:19]
	v_fma_f64 v[32:33], v[70:71], s[6:7], v[80:81]
	v_fma_f64 v[149:150], v[68:69], s[4:5], -v[149:150]
	v_fma_f64 v[135:136], v[78:79], s[6:7], v[111:112]
	v_add_f64 v[6:7], v[6:7], v[50:51]
	v_add_f64 v[86:87], v[137:138], v[139:140]
	v_fma_f64 v[137:138], v[70:71], s[14:15], -v[56:57]
	v_mul_f64 v[141:142], v[60:61], s[20:21]
	v_add_f64 v[139:140], v[159:160], v[145:146]
	v_fma_f64 v[145:146], v[78:79], s[14:15], v[64:65]
	v_add_f64 v[34:35], v[36:37], v[38:39]
	v_fma_f64 v[36:37], v[78:79], s[6:7], -v[111:112]
	v_add_f64 v[22:23], v[133:134], v[22:23]
	v_fma_f64 v[38:39], v[70:71], s[14:15], v[56:57]
	v_add_f64 v[2:3], v[58:59], v[2:3]
	v_fma_f64 v[56:57], v[78:79], s[14:15], -v[64:65]
	v_add_f64 v[0:1], v[20:21], v[0:1]
	v_add_f64 v[4:5], v[4:5], v[48:49]
	v_mul_f64 v[20:21], v[52:53], s[18:19]
	v_mul_f64 v[58:59], v[60:61], s[18:19]
	v_fma_f64 v[64:65], v[68:69], s[14:15], -v[24:25]
	v_mul_f64 v[52:53], v[52:53], s[16:17]
	v_mul_f64 v[60:61], v[60:61], s[16:17]
	v_fma_f64 v[78:79], v[68:69], s[10:11], -v[54:55]
	v_add_f64 v[10:11], v[177:178], v[10:11]
	v_add_f64 v[18:19], v[135:136], v[18:19]
	v_fma_f64 v[24:25], v[68:69], s[14:15], v[24:25]
	v_add_f64 v[70:71], v[72:73], v[86:87]
	v_fma_f64 v[86:87], v[76:77], s[10:11], v[62:63]
	v_fma_f64 v[72:73], v[76:77], s[14:15], v[66:67]
	v_add_f64 v[80:81], v[137:138], v[139:140]
	v_add_f64 v[16:17], v[145:146], v[16:17]
	;; [unrolled: 1-line block ×3, first 2 shown]
	v_fma_f64 v[34:35], v[76:77], s[14:15], -v[66:67]
	v_add_f64 v[22:23], v[36:37], v[22:23]
	v_fma_f64 v[36:37], v[68:69], s[10:11], v[54:55]
	v_add_f64 v[2:3], v[38:39], v[2:3]
	v_fma_f64 v[38:39], v[76:77], s[10:11], -v[62:63]
	v_add_f64 v[0:1], v[56:57], v[0:1]
	v_fma_f64 v[48:49], v[12:13], s[10:11], -v[123:124]
	v_add_f64 v[28:29], v[149:150], v[28:29]
	v_add_f64 v[46:47], v[6:7], v[46:47]
	;; [unrolled: 1-line block ×3, first 2 shown]
	v_fma_f64 v[66:67], v[12:13], s[6:7], -v[52:53]
	v_fma_f64 v[56:57], v[12:13], s[4:5], -v[20:21]
	v_fma_f64 v[50:51], v[14:15], s[10:11], v[141:142]
	v_add_f64 v[54:55], v[127:128], v[74:75]
	v_fma_f64 v[8:9], v[12:13], s[14:15], v[90:91]
	v_fma_f64 v[179:180], v[14:15], s[14:15], -v[119:120]
	v_add_f64 v[62:63], v[64:65], v[70:71]
	v_fma_f64 v[70:71], v[14:15], s[6:7], v[60:61]
	v_fma_f64 v[64:65], v[14:15], s[4:5], v[58:59]
	v_add_f64 v[68:69], v[78:79], v[80:81]
	v_add_f64 v[16:17], v[86:87], v[16:17]
	;; [unrolled: 1-line block ×3, first 2 shown]
	v_fma_f64 v[90:91], v[12:13], s[14:15], -v[90:91]
	v_fma_f64 v[119:120], v[14:15], s[14:15], v[119:120]
	v_add_f64 v[10:11], v[171:172], v[10:11]
	v_fma_f64 v[121:122], v[12:13], s[10:11], v[123:124]
	v_fma_f64 v[153:154], v[14:15], s[10:11], -v[141:142]
	v_fma_f64 v[74:75], v[12:13], s[4:5], v[20:21]
	v_add_f64 v[76:77], v[24:25], v[32:33]
	v_fma_f64 v[58:59], v[14:15], s[4:5], -v[58:59]
	v_add_f64 v[78:79], v[34:35], v[22:23]
	v_fma_f64 v[52:53], v[12:13], s[6:7], v[52:53]
	v_add_f64 v[80:81], v[36:37], v[2:3]
	v_fma_f64 v[60:61], v[14:15], s[6:7], -v[60:61]
	v_add_f64 v[86:87], v[38:39], v[0:1]
	v_add_f64 v[14:15], v[26:27], v[30:31]
	;; [unrolled: 1-line block ×23, first 2 shown]
	v_mul_i32_i24_e32 v44, 0xb0, v110
	v_add3_u32 v44, 0, v44, v109
	ds_write_b128 v44, v[28:31]
	ds_write_b128 v44, v[24:27] offset:16
	ds_write_b128 v44, v[20:23] offset:32
	;; [unrolled: 1-line block ×10, first 2 shown]
.LBB0_14:
	s_or_b32 exec_lo, exec_lo, s1
	v_and_b32_e32 v0, 0xff, v106
	v_lshlrev_b32_e32 v90, 2, v104
	v_mov_b32_e32 v91, 0
	s_waitcnt lgkmcnt(0)
	s_barrier
	v_mul_lo_u16 v2, 0x75, v0
	buffer_gl0_inv
	v_lshlrev_b64 v[0:1], 4, v[90:91]
	v_lshlrev_b32_e32 v112, 4, v110
	v_lshlrev_b32_e32 v90, 1, v104
	v_lshrrev_b16 v2, 8, v2
	s_mov_b32 s6, 0x134454ff
	s_mov_b32 s7, 0xbfee6f0e
	v_add_co_u32 v0, s0, s8, v0
	v_sub_nc_u16 v3, v106, v2
	v_add_co_ci_u32_e64 v1, s0, s9, v1, s0
	s_clause 0x2
	global_load_dwordx4 v[52:55], v[0:1], off
	global_load_dwordx4 v[48:51], v[0:1], off offset:16
	global_load_dwordx4 v[44:47], v[0:1], off offset:32
	v_lshrrev_b16 v3, 1, v3
	global_load_dwordx4 v[40:43], v[0:1], off offset:48
	v_mov_b32_e32 v1, 6
	v_add3_u32 v112, 0, v112, v109
	v_lshlrev_b64 v[117:118], 4, v[90:91]
	v_and_b32_e32 v0, 0x7f, v3
	v_lshlrev_b32_e32 v90, 1, v110
	v_mov_b32_e32 v110, 4
	s_mov_b32 s17, 0x3fee6f0e
	s_mov_b32 s16, s6
	v_add_nc_u16 v0, v0, v2
	s_mov_b32 s4, 0x4755a5e
	s_mov_b32 s5, 0xbfe2cf23
	;; [unrolled: 1-line block ×4, first 2 shown]
	v_lshrrev_b16 v0, 3, v0
	s_mov_b32 s10, 0x372fe950
	s_mov_b32 s11, 0x3fd3c6ef
	v_lshlrev_b64 v[119:120], 4, v[90:91]
	v_lshlrev_b32_e32 v90, 1, v106
	v_mul_lo_u16 v0, v0, 11
	v_add_co_u32 v117, s0, s8, v117
	v_add_co_ci_u32_e64 v118, s0, s9, v118, s0
	v_sub_nc_u16 v111, v106, v0
	v_lshlrev_b64 v[121:122], 4, v[90:91]
	v_lshlrev_b32_e32 v90, 1, v103
	v_add_co_u32 v119, s0, s8, v119
	v_lshlrev_b32_sdwa v0, v1, v111 dst_sel:DWORD dst_unused:UNUSED_PAD src0_sel:DWORD src1_sel:BYTE_0
	v_lshlrev_b32_sdwa v179, v110, v111 dst_sel:DWORD dst_unused:UNUSED_PAD src0_sel:DWORD src1_sel:BYTE_0
	v_lshlrev_b64 v[147:148], 4, v[90:91]
	s_clause 0x3
	global_load_dwordx4 v[20:23], v0, s[8:9]
	global_load_dwordx4 v[16:19], v0, s[8:9] offset:16
	global_load_dwordx4 v[12:15], v0, s[8:9] offset:32
	global_load_dwordx4 v[8:11], v0, s[8:9] offset:48
	ds_read_b128 v[76:79], v108 offset:528
	ds_read_b128 v[60:63], v108 offset:704
	;; [unrolled: 1-line block ×4, first 2 shown]
	ds_read_b128 v[4:7], v107
	ds_read_b128 v[0:3], v108 offset:352
	ds_read_b128 v[84:87], v108 offset:1056
	;; [unrolled: 1-line block ×9, first 2 shown]
	ds_read_b128 v[113:116], v112
	v_lshlrev_b32_e32 v90, 1, v101
	v_add_co_ci_u32_e64 v120, s0, s9, v120, s0
	s_waitcnt vmcnt(0) lgkmcnt(0)
	s_barrier
	buffer_gl0_inv
	v_mul_f64 v[123:124], v[78:79], v[54:55]
	v_mul_f64 v[125:126], v[76:77], v[54:55]
	;; [unrolled: 1-line block ×16, first 2 shown]
	v_fma_f64 v[76:77], v[76:77], v[52:53], v[123:124]
	v_fma_f64 v[78:79], v[78:79], v[52:53], -v[125:126]
	v_fma_f64 v[84:85], v[84:85], v[48:49], v[127:128]
	v_fma_f64 v[86:87], v[86:87], v[48:49], -v[129:130]
	;; [unrolled: 2-line block ×3, first 2 shown]
	v_fma_f64 v[66:67], v[66:67], v[44:45], -v[135:136]
	v_fma_f64 v[80:81], v[80:81], v[40:41], v[137:138]
	v_fma_f64 v[60:61], v[60:61], v[52:53], v[139:140]
	v_fma_f64 v[52:53], v[62:63], v[52:53], -v[54:55]
	v_fma_f64 v[54:55], v[68:69], v[48:49], v[141:142]
	v_fma_f64 v[48:49], v[70:71], v[48:49], -v[50:51]
	;; [unrolled: 2-line block ×4, first 2 shown]
	v_mul_f64 v[42:43], v[26:27], v[22:23]
	v_mul_f64 v[22:23], v[24:25], v[22:23]
	;; [unrolled: 1-line block ×8, first 2 shown]
	v_add_f64 v[68:69], v[4:5], v[76:77]
	v_add_f64 v[110:111], v[76:77], -v[84:85]
	v_add_f64 v[70:71], v[84:85], v[64:65]
	v_add_f64 v[72:73], v[78:79], -v[82:83]
	;; [unrolled: 2-line block ×3, first 2 shown]
	v_add_f64 v[125:126], v[76:77], v[80:81]
	v_add_f64 v[133:134], v[86:87], v[66:67]
	v_add_f64 v[137:138], v[78:79], -v[86:87]
	v_add_f64 v[141:142], v[78:79], v[82:83]
	v_add_f64 v[78:79], v[86:87], -v[78:79]
	v_add_f64 v[143:144], v[66:67], -v[82:83]
	v_add_f64 v[145:146], v[113:114], v[60:61]
	v_add_f64 v[167:168], v[48:49], v[44:45]
	;; [unrolled: 1-line block ×3, first 2 shown]
	v_fma_f64 v[24:25], v[24:25], v[20:21], v[42:43]
	v_fma_f64 v[20:21], v[26:27], v[20:21], -v[22:23]
	v_fma_f64 v[22:23], v[28:29], v[16:17], v[56:57]
	v_fma_f64 v[16:17], v[30:31], v[16:17], -v[18:19]
	;; [unrolled: 2-line block ×3, first 2 shown]
	v_fma_f64 v[42:43], v[36:37], v[8:9], v[62:63]
	v_add_f64 v[127:128], v[84:85], -v[76:77]
	v_add_f64 v[129:130], v[64:65], -v[80:81]
	v_fma_f64 v[56:57], v[38:39], v[8:9], -v[10:11]
	v_add_f64 v[149:150], v[54:55], v[50:51]
	v_add_f64 v[165:166], v[115:116], v[52:53]
	;; [unrolled: 1-line block ×3, first 2 shown]
	v_add_f64 v[74:75], v[86:87], -v[66:67]
	v_add_f64 v[76:77], v[76:77], -v[80:81]
	;; [unrolled: 1-line block ×6, first 2 shown]
	v_add_f64 v[8:9], v[68:69], v[84:85]
	v_fma_f64 v[10:11], v[70:71], -0.5, v[4:5]
	v_add_f64 v[14:15], v[110:111], v[123:124]
	v_fma_f64 v[4:5], v[125:126], -0.5, v[4:5]
	;; [unrolled: 2-line block ×3, first 2 shown]
	v_fma_f64 v[6:7], v[141:142], -0.5, v[6:7]
	v_add_f64 v[34:35], v[78:79], v[143:144]
	v_add_f64 v[36:37], v[145:146], v[54:55]
	v_fma_f64 v[68:69], v[167:168], -0.5, v[115:116]
	v_fma_f64 v[78:79], v[175:176], -0.5, v[115:116]
	v_add_f64 v[84:85], v[0:1], v[24:25]
	v_add_f64 v[86:87], v[22:23], v[18:19]
	v_add_f64 v[115:116], v[24:25], -v[22:23]
	v_add_f64 v[123:124], v[42:43], -v[18:19]
	v_add_f64 v[125:126], v[24:25], v[42:43]
	v_add_f64 v[133:134], v[16:17], v[12:13]
	;; [unrolled: 1-line block ×3, first 2 shown]
	v_add_f64 v[127:128], v[22:23], -v[24:25]
	v_add_f64 v[129:130], v[18:19], -v[42:43]
	v_add_f64 v[143:144], v[20:21], v[56:57]
	v_add_f64 v[151:152], v[52:53], -v[40:41]
	v_fma_f64 v[38:39], v[149:150], -0.5, v[113:114]
	v_add_f64 v[153:154], v[48:49], -v[44:45]
	v_add_f64 v[161:162], v[54:55], -v[60:61]
	;; [unrolled: 1-line block ×5, first 2 shown]
	v_add_f64 v[48:49], v[165:166], v[48:49]
	v_add_f64 v[169:170], v[54:55], -v[50:51]
	v_fma_f64 v[58:59], v[159:160], -0.5, v[113:114]
	v_add_f64 v[131:132], v[2:3], v[20:21]
	v_add_f64 v[32:33], v[137:138], v[139:140]
	;; [unrolled: 1-line block ×3, first 2 shown]
	v_add_f64 v[110:111], v[20:21], -v[56:57]
	v_add_f64 v[113:114], v[16:17], -v[12:13]
	;; [unrolled: 1-line block ×7, first 2 shown]
	v_add_f64 v[8:9], v[8:9], v[64:65]
	v_fma_f64 v[64:65], v[72:73], s[6:7], v[10:11]
	v_fma_f64 v[10:11], v[72:73], s[16:17], v[10:11]
	;; [unrolled: 1-line block ×4, first 2 shown]
	v_add_f64 v[28:29], v[28:29], v[66:67]
	v_fma_f64 v[66:67], v[76:77], s[16:17], v[30:31]
	v_fma_f64 v[155:156], v[135:136], s[6:7], v[6:7]
	;; [unrolled: 1-line block ×3, first 2 shown]
	v_add_f64 v[36:37], v[36:37], v[50:51]
	v_fma_f64 v[86:87], v[86:87], -0.5, v[0:1]
	v_add_f64 v[22:23], v[84:85], v[22:23]
	v_fma_f64 v[84:85], v[125:126], -0.5, v[0:1]
	;; [unrolled: 2-line block ×4, first 2 shown]
	v_add_f64 v[163:164], v[50:51], -v[46:47]
	v_fma_f64 v[50:51], v[151:152], s[6:7], v[38:39]
	v_fma_f64 v[30:31], v[76:77], s[6:7], v[30:31]
	v_add_f64 v[173:174], v[40:41], -v[44:45]
	v_add_f64 v[177:178], v[44:45], -v[40:41]
	v_add_f64 v[44:45], v[48:49], v[44:45]
	v_fma_f64 v[48:49], v[60:61], s[16:17], v[68:69]
	v_fma_f64 v[157:158], v[153:154], s[16:17], v[58:59]
	;; [unrolled: 1-line block ×7, first 2 shown]
	v_add_f64 v[16:17], v[131:132], v[16:17]
	v_add_f64 v[141:142], v[56:57], -v[12:13]
	v_add_f64 v[131:132], v[20:21], v[145:146]
	v_add_f64 v[0:1], v[8:9], v[80:81]
	v_fma_f64 v[8:9], v[74:75], s[4:5], v[64:65]
	v_fma_f64 v[10:11], v[74:75], s[14:15], v[10:11]
	;; [unrolled: 1-line block ×4, first 2 shown]
	v_add_f64 v[2:3], v[28:29], v[82:83]
	v_fma_f64 v[28:29], v[135:136], s[14:15], v[66:67]
	v_fma_f64 v[66:67], v[76:77], s[14:15], v[155:156]
	;; [unrolled: 1-line block ×3, first 2 shown]
	v_add_f64 v[4:5], v[36:37], v[46:47]
	v_fma_f64 v[46:47], v[110:111], s[6:7], v[86:87]
	v_fma_f64 v[74:75], v[113:114], s[16:17], v[84:85]
	;; [unrolled: 1-line block ×10, first 2 shown]
	v_add_f64 v[70:71], v[171:172], v[173:174]
	v_add_f64 v[6:7], v[44:45], v[40:41]
	v_fma_f64 v[40:41], v[169:170], s[14:15], v[48:49]
	v_add_f64 v[62:63], v[161:162], v[163:164]
	v_add_f64 v[52:53], v[52:53], v[177:178]
	v_fma_f64 v[123:124], v[151:152], s[4:5], v[157:158]
	v_fma_f64 v[48:49], v[60:61], s[14:15], v[159:160]
	;; [unrolled: 1-line block ×6, first 2 shown]
	v_add_f64 v[68:69], v[22:23], v[18:19]
	v_add_f64 v[78:79], v[16:17], v[12:13]
	;; [unrolled: 1-line block ×3, first 2 shown]
	v_fma_f64 v[16:17], v[26:27], s[10:11], v[20:21]
	v_fma_f64 v[20:21], v[26:27], s[10:11], v[64:65]
	;; [unrolled: 1-line block ×24, first 2 shown]
	v_add_f64 v[40:41], v[68:69], v[42:43]
	v_add_f64 v[42:43], v[78:79], v[56:57]
	v_fma_f64 v[44:45], v[115:116], s[10:11], v[46:47]
	v_fma_f64 v[46:47], v[129:130], s[10:11], v[76:77]
	;; [unrolled: 1-line block ×8, first 2 shown]
	v_add_co_u32 v60, s0, s8, v121
	v_add3_u32 v62, 0, v179, v109
	ds_write_b128 v108, v[0:3]
	ds_write_b128 v108, v[4:7] offset:880
	ds_write_b128 v108, v[8:11] offset:176
	;; [unrolled: 1-line block ×14, first 2 shown]
	s_waitcnt lgkmcnt(0)
	s_barrier
	buffer_gl0_inv
	s_clause 0x1
	global_load_dwordx4 v[0:3], v[117:118], off offset:720
	global_load_dwordx4 v[4:7], v[117:118], off offset:704
	v_lshlrev_b64 v[24:25], 4, v[90:91]
	v_add_co_ci_u32_e64 v61, s0, s9, v122, s0
	s_clause 0x1
	global_load_dwordx4 v[8:11], v[119:120], off offset:720
	global_load_dwordx4 v[12:15], v[119:120], off offset:704
	v_add_co_u32 v28, s0, s8, v147
	v_add_co_ci_u32_e64 v29, s0, s9, v148, s0
	s_clause 0x1
	global_load_dwordx4 v[16:19], v[60:61], off offset:720
	global_load_dwordx4 v[20:23], v[60:61], off offset:704
	v_add_co_u32 v36, s0, s8, v24
	v_add_co_ci_u32_e64 v37, s0, s9, v25, s0
	s_clause 0x3
	global_load_dwordx4 v[24:27], v[28:29], off offset:704
	global_load_dwordx4 v[28:31], v[28:29], off offset:720
	;; [unrolled: 1-line block ×4, first 2 shown]
	ds_read_b128 v[40:43], v108 offset:880
	ds_read_b128 v[44:47], v108 offset:1760
	;; [unrolled: 1-line block ×10, first 2 shown]
	ds_read_b128 v[80:83], v112
	s_mov_b32 s0, 0xe8584caa
	s_mov_b32 s1, 0xbfebb67a
	;; [unrolled: 1-line block ×4, first 2 shown]
	s_waitcnt vmcnt(9) lgkmcnt(9)
	v_mul_f64 v[86:87], v[46:47], v[2:3]
	s_waitcnt vmcnt(8)
	v_mul_f64 v[84:85], v[42:43], v[6:7]
	v_mul_f64 v[6:7], v[40:41], v[6:7]
	v_mul_f64 v[2:3], v[44:45], v[2:3]
	s_waitcnt vmcnt(7) lgkmcnt(7)
	v_mul_f64 v[109:110], v[54:55], v[10:11]
	s_waitcnt vmcnt(6)
	v_mul_f64 v[90:91], v[50:51], v[14:15]
	v_mul_f64 v[14:15], v[48:49], v[14:15]
	v_mul_f64 v[10:11], v[52:53], v[10:11]
	;; [unrolled: 6-line block ×3, first 2 shown]
	s_waitcnt vmcnt(3) lgkmcnt(4)
	v_mul_f64 v[117:118], v[66:67], v[26:27]
	v_mul_f64 v[26:27], v[64:65], v[26:27]
	s_waitcnt vmcnt(2) lgkmcnt(3)
	v_mul_f64 v[119:120], v[70:71], v[30:31]
	v_mul_f64 v[30:31], v[68:69], v[30:31]
	s_waitcnt vmcnt(1) lgkmcnt(2)
	v_mul_f64 v[121:122], v[74:75], v[34:35]
	v_mul_f64 v[34:35], v[72:73], v[34:35]
	s_waitcnt vmcnt(0) lgkmcnt(1)
	v_mul_f64 v[123:124], v[78:79], v[38:39]
	v_mul_f64 v[38:39], v[76:77], v[38:39]
	v_fma_f64 v[44:45], v[44:45], v[0:1], v[86:87]
	v_fma_f64 v[40:41], v[40:41], v[4:5], v[84:85]
	v_fma_f64 v[42:43], v[42:43], v[4:5], -v[6:7]
	v_fma_f64 v[46:47], v[46:47], v[0:1], -v[2:3]
	ds_read_b128 v[0:3], v107
	ds_read_b128 v[4:7], v108 offset:352
	v_fma_f64 v[48:49], v[48:49], v[12:13], v[90:91]
	v_fma_f64 v[50:51], v[50:51], v[12:13], -v[14:15]
	v_fma_f64 v[52:53], v[52:53], v[8:9], v[109:110]
	v_fma_f64 v[54:55], v[54:55], v[8:9], -v[10:11]
	ds_read_b128 v[8:11], v108 offset:528
	ds_read_b128 v[12:15], v108 offset:704
	v_fma_f64 v[56:57], v[56:57], v[20:21], v[113:114]
	v_fma_f64 v[20:21], v[58:59], v[20:21], -v[22:23]
	v_fma_f64 v[22:23], v[60:61], v[16:17], v[115:116]
	v_fma_f64 v[16:17], v[62:63], v[16:17], -v[18:19]
	;; [unrolled: 2-line block ×6, first 2 shown]
	s_waitcnt lgkmcnt(0)
	v_add_f64 v[58:59], v[40:41], v[44:45]
	v_add_f64 v[62:63], v[2:3], v[42:43]
	v_add_f64 v[60:61], v[42:43], -v[46:47]
	v_add_f64 v[42:43], v[42:43], v[46:47]
	v_add_f64 v[38:39], v[0:1], v[40:41]
	;; [unrolled: 1-line block ×4, first 2 shown]
	v_add_f64 v[68:69], v[50:51], -v[54:55]
	v_add_f64 v[50:51], v[50:51], v[54:55]
	v_add_f64 v[40:41], v[40:41], -v[44:45]
	v_add_f64 v[78:79], v[6:7], v[20:21]
	v_add_f64 v[74:75], v[56:57], v[22:23]
	v_add_f64 v[76:77], v[20:21], -v[16:17]
	v_add_f64 v[20:21], v[20:21], v[16:17]
	v_add_f64 v[72:73], v[4:5], v[56:57]
	;; [unrolled: 1-line block ×8, first 2 shown]
	v_add_f64 v[121:122], v[32:33], -v[36:37]
	v_fma_f64 v[58:59], v[58:59], -0.5, v[0:1]
	v_add_f64 v[109:110], v[24:25], -v[28:29]
	v_add_f64 v[24:25], v[10:11], v[24:25]
	v_fma_f64 v[32:33], v[42:43], -0.5, v[2:3]
	v_add_f64 v[64:65], v[80:81], v[48:49]
	v_add_f64 v[48:49], v[48:49], -v[52:53]
	v_add_f64 v[117:118], v[18:19], -v[26:27]
	v_add_f64 v[18:19], v[12:13], v[30:31]
	v_add_f64 v[123:124], v[30:31], -v[34:35]
	v_fma_f64 v[30:31], v[66:67], -0.5, v[80:81]
	v_add_f64 v[0:1], v[38:39], v[44:45]
	v_fma_f64 v[38:39], v[50:51], -0.5, v[82:83]
	v_add_f64 v[56:57], v[56:57], -v[22:23]
	v_fma_f64 v[42:43], v[74:75], -0.5, v[4:5]
	v_fma_f64 v[44:45], v[20:21], -0.5, v[6:7]
	v_add_f64 v[2:3], v[62:63], v[46:47]
	v_fma_f64 v[46:47], v[84:85], -0.5, v[8:9]
	v_fma_f64 v[50:51], v[90:91], -0.5, v[10:11]
	v_add_f64 v[6:7], v[70:71], v[54:55]
	;; [unrolled: 3-line block ×3, first 2 shown]
	v_fma_f64 v[20:21], v[60:61], s[0:1], v[58:59]
	v_add_f64 v[12:13], v[86:87], v[26:27]
	v_add_f64 v[14:15], v[24:25], v[28:29]
	v_fma_f64 v[22:23], v[40:41], s[4:5], v[32:33]
	v_fma_f64 v[24:25], v[60:61], s[4:5], v[58:59]
	;; [unrolled: 1-line block ×3, first 2 shown]
	v_add_f64 v[4:5], v[64:65], v[52:53]
	v_add_f64 v[10:11], v[78:79], v[16:17]
	;; [unrolled: 1-line block ×3, first 2 shown]
	v_fma_f64 v[28:29], v[68:69], s[0:1], v[30:31]
	v_fma_f64 v[32:33], v[68:69], s[4:5], v[30:31]
	;; [unrolled: 1-line block ×4, first 2 shown]
	v_add_f64 v[18:19], v[119:120], v[36:37]
	v_fma_f64 v[36:37], v[76:77], s[0:1], v[42:43]
	v_fma_f64 v[38:39], v[56:57], s[4:5], v[44:45]
	;; [unrolled: 1-line block ×12, first 2 shown]
	s_barrier
	buffer_gl0_inv
	ds_write_b128 v108, v[0:3]
	ds_write_b128 v108, v[20:23] offset:880
	ds_write_b128 v108, v[24:27] offset:1760
	ds_write_b128 v112, v[4:7]
	ds_write_b128 v112, v[28:31] offset:880
	ds_write_b128 v112, v[32:35] offset:1760
	;; [unrolled: 1-line block ×11, first 2 shown]
	s_waitcnt lgkmcnt(0)
	s_barrier
	buffer_gl0_inv
	s_and_saveexec_b32 s0, vcc_lo
	s_cbranch_execz .LBB0_16
; %bb.15:
	v_mad_u64_u32 v[8:9], null, s2, v104, 0
	v_mad_u64_u32 v[12:13], null, s2, v105, 0
	;; [unrolled: 1-line block ×4, first 2 shown]
	v_mov_b32_e32 v0, v9
	v_mad_u64_u32 v[20:21], null, s2, v101, 0
	v_mov_b32_e32 v1, v13
	v_add_co_u32 v30, vcc_lo, s12, v88
	v_add_co_ci_u32_e32 v31, vcc_lo, s13, v89, vcc_lo
	v_mad_u64_u32 v[2:3], null, s3, v104, v[0:1]
	v_mov_b32_e32 v0, v15
	v_mad_u64_u32 v[24:25], null, s3, v103, v[19:20]
	v_mov_b32_e32 v19, v21
	v_mad_u64_u32 v[22:23], null, s2, v102, 0
	v_mad_u64_u32 v[10:11], null, s3, v105, v[1:2]
	v_mov_b32_e32 v9, v2
	v_mad_u64_u32 v[15:16], null, s3, v106, v[0:1]
	ds_read_b128 v[0:3], v107
	ds_read_b128 v[4:7], v107 offset:176
	v_mad_u64_u32 v[25:26], null, s3, v101, v[19:20]
	v_mov_b32_e32 v13, v10
	v_lshlrev_b64 v[16:17], 4, v[8:9]
	ds_read_b128 v[8:11], v107 offset:352
	v_lshlrev_b64 v[14:15], 4, v[14:15]
	v_mov_b32_e32 v19, v24
	v_lshlrev_b64 v[12:13], 4, v[12:13]
	v_mov_b32_e32 v21, v23
	v_add_co_u32 v16, vcc_lo, v30, v16
	v_add_co_ci_u32_e32 v17, vcc_lo, v31, v17, vcc_lo
	v_add_co_u32 v12, vcc_lo, v30, v12
	v_add_co_ci_u32_e32 v13, vcc_lo, v31, v13, vcc_lo
	v_add_co_u32 v14, vcc_lo, v30, v14
	s_waitcnt lgkmcnt(2)
	global_store_dwordx4 v[16:17], v[0:3], off
	s_waitcnt lgkmcnt(1)
	global_store_dwordx4 v[12:13], v[4:7], off
	v_lshlrev_b64 v[4:5], 4, v[18:19]
	v_add_co_ci_u32_e32 v15, vcc_lo, v31, v15, vcc_lo
	v_mad_u64_u32 v[26:27], null, s3, v102, v[21:22]
	ds_read_b128 v[0:3], v107 offset:528
	s_waitcnt lgkmcnt(1)
	global_store_dwordx4 v[14:15], v[8:11], off
	v_add_co_u32 v14, vcc_lo, v30, v4
	v_add_co_ci_u32_e32 v15, vcc_lo, v31, v5, vcc_lo
	ds_read_b128 v[4:7], v107 offset:704
	ds_read_b128 v[8:11], v107 offset:880
	v_mov_b32_e32 v21, v25
	v_mad_u64_u32 v[12:13], null, s2, v100, 0
	v_mov_b32_e32 v23, v26
	v_lshlrev_b64 v[16:17], 4, v[20:21]
	v_mad_u64_u32 v[20:21], null, s2, v99, 0
	v_lshlrev_b64 v[18:19], 4, v[22:23]
	v_mad_u64_u32 v[22:23], null, s3, v100, v[13:14]
	v_add_co_u32 v16, vcc_lo, v30, v16
	v_add_co_ci_u32_e32 v17, vcc_lo, v31, v17, vcc_lo
	v_mad_u64_u32 v[23:24], null, s2, v98, 0
	v_add_co_u32 v18, vcc_lo, v30, v18
	v_add_co_ci_u32_e32 v19, vcc_lo, v31, v19, vcc_lo
	v_mov_b32_e32 v13, v22
	v_mad_u64_u32 v[21:22], null, s3, v99, v[21:22]
	s_waitcnt lgkmcnt(2)
	global_store_dwordx4 v[14:15], v[0:3], off
	s_waitcnt lgkmcnt(1)
	global_store_dwordx4 v[16:17], v[4:7], off
	;; [unrolled: 2-line block ×3, first 2 shown]
	v_mad_u64_u32 v[16:17], null, s2, v97, 0
	v_mov_b32_e32 v2, v24
	v_lshlrev_b64 v[0:1], 4, v[12:13]
	v_lshlrev_b64 v[10:11], 4, v[20:21]
	v_mad_u64_u32 v[8:9], null, s3, v98, v[2:3]
	v_mov_b32_e32 v9, v17
	v_add_co_u32 v18, vcc_lo, v30, v0
	v_add_co_ci_u32_e32 v19, vcc_lo, v31, v1, vcc_lo
	v_mad_u64_u32 v[20:21], null, s3, v97, v[9:10]
	v_mad_u64_u32 v[21:22], null, s2, v96, 0
	ds_read_b128 v[0:3], v107 offset:1056
	ds_read_b128 v[4:7], v107 offset:1232
	v_add_co_u32 v25, vcc_lo, v30, v10
	v_mov_b32_e32 v24, v8
	v_mov_b32_e32 v17, v20
	v_add_co_ci_u32_e32 v26, vcc_lo, v31, v11, vcc_lo
	v_mov_b32_e32 v20, v22
	ds_read_b128 v[8:11], v107 offset:1408
	ds_read_b128 v[12:15], v107 offset:1584
	v_lshlrev_b64 v[23:24], 4, v[23:24]
	v_lshlrev_b64 v[16:17], 4, v[16:17]
	v_mad_u64_u32 v[27:28], null, s3, v96, v[20:21]
	v_mad_u64_u32 v[28:29], null, s2, v95, 0
	v_add_co_u32 v23, vcc_lo, v30, v23
	v_add_co_ci_u32_e32 v24, vcc_lo, v31, v24, vcc_lo
	v_mov_b32_e32 v22, v27
	s_waitcnt lgkmcnt(3)
	global_store_dwordx4 v[18:19], v[0:3], off
	v_add_co_u32 v16, vcc_lo, v30, v16
	v_mov_b32_e32 v0, v29
	v_lshlrev_b64 v[1:2], 4, v[21:22]
	v_add_co_ci_u32_e32 v17, vcc_lo, v31, v17, vcc_lo
	s_waitcnt lgkmcnt(2)
	global_store_dwordx4 v[25:26], v[4:7], off
	s_waitcnt lgkmcnt(1)
	global_store_dwordx4 v[23:24], v[8:11], off
	;; [unrolled: 2-line block ×3, first 2 shown]
	v_mad_u64_u32 v[8:9], null, s2, v94, 0
	v_mad_u64_u32 v[3:4], null, s3, v95, v[0:1]
	;; [unrolled: 1-line block ×4, first 2 shown]
	v_mov_b32_e32 v0, v9
	v_add_co_u32 v22, vcc_lo, v30, v1
	v_mov_b32_e32 v29, v3
	v_add_co_ci_u32_e32 v23, vcc_lo, v31, v2, vcc_lo
	v_mad_u64_u32 v[9:10], null, s3, v94, v[0:1]
	v_lshlrev_b64 v[11:12], 4, v[28:29]
	v_mov_b32_e32 v10, v21
	v_mov_b32_e32 v13, v25
	ds_read_b128 v[0:3], v107 offset:1760
	ds_read_b128 v[4:7], v107 offset:1936
	v_mad_u64_u32 v[14:15], null, s3, v93, v[10:11]
	v_lshlrev_b64 v[28:29], 4, v[8:9]
	v_mad_u64_u32 v[25:26], null, s3, v92, v[13:14]
	v_add_co_u32 v26, vcc_lo, v30, v11
	v_add_co_ci_u32_e32 v27, vcc_lo, v31, v12, vcc_lo
	v_mov_b32_e32 v21, v14
	ds_read_b128 v[8:11], v107 offset:2112
	ds_read_b128 v[12:15], v107 offset:2288
	;; [unrolled: 1-line block ×3, first 2 shown]
	v_add_co_u32 v28, vcc_lo, v30, v28
	v_lshlrev_b64 v[24:25], 4, v[24:25]
	v_lshlrev_b64 v[20:21], 4, v[20:21]
	v_add_co_ci_u32_e32 v29, vcc_lo, v31, v29, vcc_lo
	v_add_co_u32 v20, vcc_lo, v30, v20
	v_add_co_ci_u32_e32 v21, vcc_lo, v31, v21, vcc_lo
	v_add_co_u32 v24, vcc_lo, v30, v24
	v_add_co_ci_u32_e32 v25, vcc_lo, v31, v25, vcc_lo
	s_waitcnt lgkmcnt(4)
	global_store_dwordx4 v[22:23], v[0:3], off
	s_waitcnt lgkmcnt(3)
	global_store_dwordx4 v[26:27], v[4:7], off
	;; [unrolled: 2-line block ×5, first 2 shown]
.LBB0_16:
	s_endpgm
	.section	.rodata,"a",@progbits
	.p2align	6, 0x0
	.amdhsa_kernel fft_rtc_back_len165_factors_11_5_3_wgs_55_tpt_11_dp_ip_CI_sbrr_dirReg
		.amdhsa_group_segment_fixed_size 0
		.amdhsa_private_segment_fixed_size 0
		.amdhsa_kernarg_size 88
		.amdhsa_user_sgpr_count 6
		.amdhsa_user_sgpr_private_segment_buffer 1
		.amdhsa_user_sgpr_dispatch_ptr 0
		.amdhsa_user_sgpr_queue_ptr 0
		.amdhsa_user_sgpr_kernarg_segment_ptr 1
		.amdhsa_user_sgpr_dispatch_id 0
		.amdhsa_user_sgpr_flat_scratch_init 0
		.amdhsa_user_sgpr_private_segment_size 0
		.amdhsa_wavefront_size32 1
		.amdhsa_uses_dynamic_stack 0
		.amdhsa_system_sgpr_private_segment_wavefront_offset 0
		.amdhsa_system_sgpr_workgroup_id_x 1
		.amdhsa_system_sgpr_workgroup_id_y 0
		.amdhsa_system_sgpr_workgroup_id_z 0
		.amdhsa_system_sgpr_workgroup_info 0
		.amdhsa_system_vgpr_workitem_id 0
		.amdhsa_next_free_vgpr 205
		.amdhsa_next_free_sgpr 38
		.amdhsa_reserve_vcc 1
		.amdhsa_reserve_flat_scratch 0
		.amdhsa_float_round_mode_32 0
		.amdhsa_float_round_mode_16_64 0
		.amdhsa_float_denorm_mode_32 3
		.amdhsa_float_denorm_mode_16_64 3
		.amdhsa_dx10_clamp 1
		.amdhsa_ieee_mode 1
		.amdhsa_fp16_overflow 0
		.amdhsa_workgroup_processor_mode 1
		.amdhsa_memory_ordered 1
		.amdhsa_forward_progress 0
		.amdhsa_shared_vgpr_count 0
		.amdhsa_exception_fp_ieee_invalid_op 0
		.amdhsa_exception_fp_denorm_src 0
		.amdhsa_exception_fp_ieee_div_zero 0
		.amdhsa_exception_fp_ieee_overflow 0
		.amdhsa_exception_fp_ieee_underflow 0
		.amdhsa_exception_fp_ieee_inexact 0
		.amdhsa_exception_int_div_zero 0
	.end_amdhsa_kernel
	.text
.Lfunc_end0:
	.size	fft_rtc_back_len165_factors_11_5_3_wgs_55_tpt_11_dp_ip_CI_sbrr_dirReg, .Lfunc_end0-fft_rtc_back_len165_factors_11_5_3_wgs_55_tpt_11_dp_ip_CI_sbrr_dirReg
                                        ; -- End function
	.section	.AMDGPU.csdata,"",@progbits
; Kernel info:
; codeLenInByte = 12432
; NumSgprs: 40
; NumVgprs: 205
; ScratchSize: 0
; MemoryBound: 0
; FloatMode: 240
; IeeeMode: 1
; LDSByteSize: 0 bytes/workgroup (compile time only)
; SGPRBlocks: 4
; VGPRBlocks: 25
; NumSGPRsForWavesPerEU: 40
; NumVGPRsForWavesPerEU: 205
; Occupancy: 4
; WaveLimiterHint : 1
; COMPUTE_PGM_RSRC2:SCRATCH_EN: 0
; COMPUTE_PGM_RSRC2:USER_SGPR: 6
; COMPUTE_PGM_RSRC2:TRAP_HANDLER: 0
; COMPUTE_PGM_RSRC2:TGID_X_EN: 1
; COMPUTE_PGM_RSRC2:TGID_Y_EN: 0
; COMPUTE_PGM_RSRC2:TGID_Z_EN: 0
; COMPUTE_PGM_RSRC2:TIDIG_COMP_CNT: 0
	.text
	.p2alignl 6, 3214868480
	.fill 48, 4, 3214868480
	.type	__hip_cuid_170ad628efc8a6ea,@object ; @__hip_cuid_170ad628efc8a6ea
	.section	.bss,"aw",@nobits
	.globl	__hip_cuid_170ad628efc8a6ea
__hip_cuid_170ad628efc8a6ea:
	.byte	0                               ; 0x0
	.size	__hip_cuid_170ad628efc8a6ea, 1

	.ident	"AMD clang version 19.0.0git (https://github.com/RadeonOpenCompute/llvm-project roc-6.4.0 25133 c7fe45cf4b819c5991fe208aaa96edf142730f1d)"
	.section	".note.GNU-stack","",@progbits
	.addrsig
	.addrsig_sym __hip_cuid_170ad628efc8a6ea
	.amdgpu_metadata
---
amdhsa.kernels:
  - .args:
      - .actual_access:  read_only
        .address_space:  global
        .offset:         0
        .size:           8
        .value_kind:     global_buffer
      - .offset:         8
        .size:           8
        .value_kind:     by_value
      - .actual_access:  read_only
        .address_space:  global
        .offset:         16
        .size:           8
        .value_kind:     global_buffer
      - .actual_access:  read_only
        .address_space:  global
        .offset:         24
        .size:           8
        .value_kind:     global_buffer
      - .offset:         32
        .size:           8
        .value_kind:     by_value
      - .actual_access:  read_only
        .address_space:  global
        .offset:         40
        .size:           8
        .value_kind:     global_buffer
      - .actual_access:  read_only
        .address_space:  global
        .offset:         48
        .size:           8
        .value_kind:     global_buffer
      - .offset:         56
        .size:           4
        .value_kind:     by_value
      - .actual_access:  read_only
        .address_space:  global
        .offset:         64
        .size:           8
        .value_kind:     global_buffer
      - .actual_access:  read_only
        .address_space:  global
        .offset:         72
        .size:           8
        .value_kind:     global_buffer
      - .address_space:  global
        .offset:         80
        .size:           8
        .value_kind:     global_buffer
    .group_segment_fixed_size: 0
    .kernarg_segment_align: 8
    .kernarg_segment_size: 88
    .language:       OpenCL C
    .language_version:
      - 2
      - 0
    .max_flat_workgroup_size: 55
    .name:           fft_rtc_back_len165_factors_11_5_3_wgs_55_tpt_11_dp_ip_CI_sbrr_dirReg
    .private_segment_fixed_size: 0
    .sgpr_count:     40
    .sgpr_spill_count: 0
    .symbol:         fft_rtc_back_len165_factors_11_5_3_wgs_55_tpt_11_dp_ip_CI_sbrr_dirReg.kd
    .uniform_work_group_size: 1
    .uses_dynamic_stack: false
    .vgpr_count:     205
    .vgpr_spill_count: 0
    .wavefront_size: 32
    .workgroup_processor_mode: 1
amdhsa.target:   amdgcn-amd-amdhsa--gfx1030
amdhsa.version:
  - 1
  - 2
...

	.end_amdgpu_metadata
